;; amdgpu-corpus repo=ROCm/rocFFT kind=compiled arch=gfx950 opt=O3
	.text
	.amdgcn_target "amdgcn-amd-amdhsa--gfx950"
	.amdhsa_code_object_version 6
	.protected	fft_rtc_back_len1584_factors_4_2_2_11_3_3_wgs_176_tpt_176_halfLds_sp_op_CI_CI_unitstride_sbrr_C2R_dirReg ; -- Begin function fft_rtc_back_len1584_factors_4_2_2_11_3_3_wgs_176_tpt_176_halfLds_sp_op_CI_CI_unitstride_sbrr_C2R_dirReg
	.globl	fft_rtc_back_len1584_factors_4_2_2_11_3_3_wgs_176_tpt_176_halfLds_sp_op_CI_CI_unitstride_sbrr_C2R_dirReg
	.p2align	8
	.type	fft_rtc_back_len1584_factors_4_2_2_11_3_3_wgs_176_tpt_176_halfLds_sp_op_CI_CI_unitstride_sbrr_C2R_dirReg,@function
fft_rtc_back_len1584_factors_4_2_2_11_3_3_wgs_176_tpt_176_halfLds_sp_op_CI_CI_unitstride_sbrr_C2R_dirReg: ; @fft_rtc_back_len1584_factors_4_2_2_11_3_3_wgs_176_tpt_176_halfLds_sp_op_CI_CI_unitstride_sbrr_C2R_dirReg
; %bb.0:
	s_load_dwordx4 s[4:7], s[0:1], 0x58
	s_load_dwordx4 s[8:11], s[0:1], 0x0
	;; [unrolled: 1-line block ×3, first 2 shown]
	v_mul_u32_u24_e32 v1, 0x175, v0
	v_add_u32_sdwa v6, s2, v1 dst_sel:DWORD dst_unused:UNUSED_PAD src0_sel:DWORD src1_sel:WORD_1
	v_mov_b32_e32 v4, 0
	s_waitcnt lgkmcnt(0)
	v_cmp_lt_u64_e64 s[2:3], s[10:11], 2
	v_mov_b32_e32 v7, v4
	s_and_b64 vcc, exec, s[2:3]
	v_mov_b64_e32 v[2:3], 0
	s_cbranch_vccnz .LBB0_8
; %bb.1:
	s_load_dwordx2 s[2:3], s[0:1], 0x10
	s_add_u32 s16, s14, 8
	s_addc_u32 s17, s15, 0
	s_add_u32 s18, s12, 8
	s_addc_u32 s19, s13, 0
	s_waitcnt lgkmcnt(0)
	s_add_u32 s20, s2, 8
	v_mov_b64_e32 v[2:3], 0
	s_addc_u32 s21, s3, 0
	s_mov_b64 s[22:23], 1
	v_mov_b64_e32 v[28:29], v[2:3]
.LBB0_2:                                ; =>This Inner Loop Header: Depth=1
	s_load_dwordx2 s[24:25], s[20:21], 0x0
                                        ; implicit-def: $vgpr30_vgpr31
	s_waitcnt lgkmcnt(0)
	v_or_b32_e32 v5, s25, v7
	v_cmp_ne_u64_e32 vcc, 0, v[4:5]
	s_and_saveexec_b64 s[2:3], vcc
	s_xor_b64 s[26:27], exec, s[2:3]
	s_cbranch_execz .LBB0_4
; %bb.3:                                ;   in Loop: Header=BB0_2 Depth=1
	v_cvt_f32_u32_e32 v1, s24
	v_cvt_f32_u32_e32 v5, s25
	s_sub_u32 s2, 0, s24
	s_subb_u32 s3, 0, s25
	v_fmac_f32_e32 v1, 0x4f800000, v5
	v_rcp_f32_e32 v1, v1
	s_nop 0
	v_mul_f32_e32 v1, 0x5f7ffffc, v1
	v_mul_f32_e32 v5, 0x2f800000, v1
	v_trunc_f32_e32 v5, v5
	v_fmac_f32_e32 v1, 0xcf800000, v5
	v_cvt_u32_f32_e32 v5, v5
	v_cvt_u32_f32_e32 v1, v1
	v_mul_lo_u32 v8, s2, v5
	v_mul_hi_u32 v10, s2, v1
	v_mul_lo_u32 v9, s3, v1
	v_add_u32_e32 v10, v10, v8
	v_mul_lo_u32 v12, s2, v1
	v_add_u32_e32 v13, v10, v9
	v_mul_hi_u32 v8, v1, v12
	v_mul_hi_u32 v11, v1, v13
	v_mul_lo_u32 v10, v1, v13
	v_mov_b32_e32 v9, v4
	v_lshl_add_u64 v[8:9], v[8:9], 0, v[10:11]
	v_mul_hi_u32 v11, v5, v12
	v_mul_lo_u32 v12, v5, v12
	v_add_co_u32_e32 v8, vcc, v8, v12
	v_mul_hi_u32 v10, v5, v13
	s_nop 0
	v_addc_co_u32_e32 v8, vcc, v9, v11, vcc
	v_mov_b32_e32 v9, v4
	s_nop 0
	v_addc_co_u32_e32 v11, vcc, 0, v10, vcc
	v_mul_lo_u32 v10, v5, v13
	v_lshl_add_u64 v[8:9], v[8:9], 0, v[10:11]
	v_add_co_u32_e32 v1, vcc, v1, v8
	v_mul_lo_u32 v10, s2, v1
	s_nop 0
	v_addc_co_u32_e32 v5, vcc, v5, v9, vcc
	v_mul_lo_u32 v8, s2, v5
	v_mul_hi_u32 v9, s2, v1
	v_add_u32_e32 v8, v9, v8
	v_mul_lo_u32 v9, s3, v1
	v_add_u32_e32 v12, v8, v9
	v_mul_hi_u32 v14, v5, v10
	v_mul_lo_u32 v15, v5, v10
	v_mul_hi_u32 v9, v1, v12
	v_mul_lo_u32 v8, v1, v12
	v_mul_hi_u32 v10, v1, v10
	v_mov_b32_e32 v11, v4
	v_lshl_add_u64 v[8:9], v[10:11], 0, v[8:9]
	v_add_co_u32_e32 v8, vcc, v8, v15
	v_mul_hi_u32 v13, v5, v12
	s_nop 0
	v_addc_co_u32_e32 v8, vcc, v9, v14, vcc
	v_mul_lo_u32 v10, v5, v12
	s_nop 0
	v_addc_co_u32_e32 v11, vcc, 0, v13, vcc
	v_mov_b32_e32 v9, v4
	v_lshl_add_u64 v[8:9], v[8:9], 0, v[10:11]
	v_add_co_u32_e32 v1, vcc, v1, v8
	v_mul_hi_u32 v10, v6, v1
	s_nop 0
	v_addc_co_u32_e32 v5, vcc, v5, v9, vcc
	v_mad_u64_u32 v[8:9], s[2:3], v6, v5, 0
	v_mov_b32_e32 v11, v4
	v_lshl_add_u64 v[8:9], v[10:11], 0, v[8:9]
	v_mad_u64_u32 v[12:13], s[2:3], v7, v1, 0
	v_add_co_u32_e32 v1, vcc, v8, v12
	v_mad_u64_u32 v[10:11], s[2:3], v7, v5, 0
	s_nop 0
	v_addc_co_u32_e32 v8, vcc, v9, v13, vcc
	v_mov_b32_e32 v9, v4
	s_nop 0
	v_addc_co_u32_e32 v11, vcc, 0, v11, vcc
	v_lshl_add_u64 v[8:9], v[8:9], 0, v[10:11]
	v_mul_lo_u32 v1, s25, v8
	v_mul_lo_u32 v5, s24, v9
	v_mad_u64_u32 v[10:11], s[2:3], s24, v8, 0
	v_add3_u32 v1, v11, v5, v1
	v_sub_u32_e32 v5, v7, v1
	v_mov_b32_e32 v11, s25
	v_sub_co_u32_e32 v14, vcc, v6, v10
	v_lshl_add_u64 v[12:13], v[8:9], 0, 1
	s_nop 0
	v_subb_co_u32_e64 v5, s[2:3], v5, v11, vcc
	v_subrev_co_u32_e64 v10, s[2:3], s24, v14
	v_subb_co_u32_e32 v1, vcc, v7, v1, vcc
	s_nop 0
	v_subbrev_co_u32_e64 v5, s[2:3], 0, v5, s[2:3]
	v_cmp_le_u32_e64 s[2:3], s25, v5
	v_cmp_le_u32_e32 vcc, s25, v1
	s_nop 0
	v_cndmask_b32_e64 v11, 0, -1, s[2:3]
	v_cmp_le_u32_e64 s[2:3], s24, v10
	s_nop 1
	v_cndmask_b32_e64 v10, 0, -1, s[2:3]
	v_cmp_eq_u32_e64 s[2:3], s25, v5
	s_nop 1
	v_cndmask_b32_e64 v5, v11, v10, s[2:3]
	v_lshl_add_u64 v[10:11], v[8:9], 0, 2
	v_cmp_ne_u32_e64 s[2:3], 0, v5
	s_nop 1
	v_cndmask_b32_e64 v5, v13, v11, s[2:3]
	v_cndmask_b32_e64 v11, 0, -1, vcc
	v_cmp_le_u32_e32 vcc, s24, v14
	s_nop 1
	v_cndmask_b32_e64 v13, 0, -1, vcc
	v_cmp_eq_u32_e32 vcc, s25, v1
	s_nop 1
	v_cndmask_b32_e32 v1, v11, v13, vcc
	v_cmp_ne_u32_e32 vcc, 0, v1
	v_cndmask_b32_e64 v1, v12, v10, s[2:3]
	s_nop 0
	v_cndmask_b32_e32 v31, v9, v5, vcc
	v_cndmask_b32_e32 v30, v8, v1, vcc
.LBB0_4:                                ;   in Loop: Header=BB0_2 Depth=1
	s_andn2_saveexec_b64 s[2:3], s[26:27]
	s_cbranch_execz .LBB0_6
; %bb.5:                                ;   in Loop: Header=BB0_2 Depth=1
	v_cvt_f32_u32_e32 v1, s24
	s_sub_i32 s26, 0, s24
	v_mov_b32_e32 v31, v4
	v_rcp_iflag_f32_e32 v1, v1
	s_nop 0
	v_mul_f32_e32 v1, 0x4f7ffffe, v1
	v_cvt_u32_f32_e32 v1, v1
	v_mul_lo_u32 v5, s26, v1
	v_mul_hi_u32 v5, v1, v5
	v_add_u32_e32 v1, v1, v5
	v_mul_hi_u32 v1, v6, v1
	v_mul_lo_u32 v5, v1, s24
	v_sub_u32_e32 v5, v6, v5
	v_add_u32_e32 v8, 1, v1
	v_subrev_u32_e32 v9, s24, v5
	v_cmp_le_u32_e32 vcc, s24, v5
	s_nop 1
	v_cndmask_b32_e32 v5, v5, v9, vcc
	v_cndmask_b32_e32 v1, v1, v8, vcc
	v_add_u32_e32 v8, 1, v1
	v_cmp_le_u32_e32 vcc, s24, v5
	s_nop 1
	v_cndmask_b32_e32 v30, v1, v8, vcc
.LBB0_6:                                ;   in Loop: Header=BB0_2 Depth=1
	s_or_b64 exec, exec, s[2:3]
	v_mad_u64_u32 v[8:9], s[2:3], v30, s24, 0
	s_load_dwordx2 s[2:3], s[18:19], 0x0
	v_mul_lo_u32 v1, v31, s24
	v_mul_lo_u32 v5, v30, s25
	s_load_dwordx2 s[24:25], s[16:17], 0x0
	s_add_u32 s22, s22, 1
	v_add3_u32 v1, v9, v5, v1
	v_sub_co_u32_e32 v5, vcc, v6, v8
	s_addc_u32 s23, s23, 0
	s_nop 0
	v_subb_co_u32_e32 v1, vcc, v7, v1, vcc
	s_add_u32 s16, s16, 8
	s_waitcnt lgkmcnt(0)
	v_mul_lo_u32 v6, s2, v1
	v_mul_lo_u32 v7, s3, v5
	v_mad_u64_u32 v[2:3], s[2:3], s2, v5, v[2:3]
	s_addc_u32 s17, s17, 0
	v_add3_u32 v3, v7, v3, v6
	v_mul_lo_u32 v1, s24, v1
	v_mul_lo_u32 v6, s25, v5
	v_mad_u64_u32 v[28:29], s[2:3], s24, v5, v[28:29]
	s_add_u32 s18, s18, 8
	v_add3_u32 v29, v6, v29, v1
	s_addc_u32 s19, s19, 0
	v_mov_b64_e32 v[6:7], s[10:11]
	s_add_u32 s20, s20, 8
	v_cmp_ge_u64_e32 vcc, s[22:23], v[6:7]
	s_addc_u32 s21, s21, 0
	s_cbranch_vccnz .LBB0_9
; %bb.7:                                ;   in Loop: Header=BB0_2 Depth=1
	v_mov_b64_e32 v[6:7], v[30:31]
	s_branch .LBB0_2
.LBB0_8:
	v_mov_b64_e32 v[28:29], v[2:3]
	v_mov_b64_e32 v[30:31], v[6:7]
.LBB0_9:
	s_load_dwordx2 s[2:3], s[0:1], 0x28
	s_lshl_b64 s[16:17], s[10:11], 3
	s_add_u32 s10, s14, s16
	s_addc_u32 s11, s15, s17
                                        ; implicit-def: $vgpr32
	s_waitcnt lgkmcnt(0)
	v_cmp_gt_u64_e64 s[0:1], s[2:3], v[30:31]
	v_cmp_le_u64_e32 vcc, s[2:3], v[30:31]
	s_and_saveexec_b64 s[2:3], vcc
	s_xor_b64 s[2:3], exec, s[2:3]
; %bb.10:
	s_mov_b32 s14, 0x1745d18
	v_mul_hi_u32 v1, v0, s14
	v_mul_u32_u24_e32 v1, 0xb0, v1
	v_sub_u32_e32 v32, v0, v1
                                        ; implicit-def: $vgpr0
                                        ; implicit-def: $vgpr2_vgpr3
; %bb.11:
	s_or_saveexec_b64 s[2:3], s[2:3]
	s_load_dwordx2 s[10:11], s[10:11], 0x0
	s_xor_b64 exec, exec, s[2:3]
	s_cbranch_execz .LBB0_15
; %bb.12:
	s_add_u32 s12, s12, s16
	s_addc_u32 s13, s13, s17
	s_load_dwordx2 s[12:13], s[12:13], 0x0
	s_mov_b32 s14, 0x1745d18
	s_waitcnt lgkmcnt(0)
	v_mul_lo_u32 v1, s13, v30
	v_mul_lo_u32 v6, s12, v31
	v_mad_u64_u32 v[4:5], s[12:13], s12, v30, 0
	v_add3_u32 v5, v5, v6, v1
	v_mul_hi_u32 v1, v0, s14
	v_mul_u32_u24_e32 v1, 0xb0, v1
	v_sub_u32_e32 v32, v0, v1
	v_lshl_add_u64 v[0:1], v[4:5], 3, s[4:5]
	v_lshl_add_u64 v[2:3], v[2:3], 3, v[0:1]
	v_lshlrev_b32_e32 v0, 3, v32
	v_mov_b32_e32 v1, 0
	v_lshl_add_u64 v[4:5], v[2:3], 0, v[0:1]
	s_movk_i32 s4, 0x1000
	v_add_co_u32_e32 v6, vcc, s4, v4
	s_movk_i32 s4, 0xaf
	s_nop 0
	v_addc_co_u32_e32 v7, vcc, 0, v5, vcc
	global_load_dwordx2 v[8:9], v[4:5], off
	global_load_dwordx2 v[10:11], v[4:5], off offset:1408
	global_load_dwordx2 v[12:13], v[4:5], off offset:2816
	;; [unrolled: 1-line block ×3, first 2 shown]
	v_add_co_u32_e32 v4, vcc, 0x2000, v4
	v_add_u32_e32 v0, 0, v0
	s_nop 0
	v_addc_co_u32_e32 v5, vcc, 0, v5, vcc
	global_load_dwordx2 v[16:17], v[6:7], off offset:1536
	global_load_dwordx2 v[18:19], v[6:7], off offset:2944
	;; [unrolled: 1-line block ×5, first 2 shown]
	v_cmp_eq_u32_e32 vcc, s4, v32
	v_add_u32_e32 v4, 0xa00, v0
	v_add_u32_e32 v5, 0x1400, v0
	v_add_u32_e32 v6, 0x2000, v0
	s_waitcnt vmcnt(7)
	ds_write2_b64 v0, v[8:9], v[10:11] offset1:176
	s_waitcnt vmcnt(5)
	ds_write2_b64 v4, v[12:13], v[14:15] offset0:32 offset1:208
	s_waitcnt vmcnt(3)
	ds_write2_b64 v5, v[16:17], v[18:19] offset0:64 offset1:240
	;; [unrolled: 2-line block ×3, first 2 shown]
	s_waitcnt vmcnt(0)
	ds_write_b64 v0, v[24:25] offset:11264
	s_and_saveexec_b64 s[4:5], vcc
	s_cbranch_execz .LBB0_14
; %bb.13:
	v_add_co_u32_e32 v2, vcc, 0x3000, v2
	v_mov_b32_e32 v32, 0xaf
	s_nop 0
	v_addc_co_u32_e32 v3, vcc, 0, v3, vcc
	global_load_dwordx2 v[2:3], v[2:3], off offset:384
	s_waitcnt vmcnt(0)
	ds_write_b64 v1, v[2:3] offset:12672
.LBB0_14:
	s_or_b64 exec, exec, s[4:5]
.LBB0_15:
	s_or_b64 exec, exec, s[2:3]
	v_lshlrev_b32_e32 v0, 3, v32
	v_add_u32_e32 v42, 0, v0
	s_waitcnt lgkmcnt(0)
	s_barrier
	v_sub_u32_e32 v4, 0, v0
	ds_read_b32 v1, v42
	ds_read_b32 v2, v4 offset:12672
	s_add_u32 s2, s8, 0x3160
	s_addc_u32 s3, s9, 0
	v_cmp_ne_u32_e32 vcc, 0, v32
	s_waitcnt lgkmcnt(0)
	v_add_f32_e32 v0, v2, v1
	v_sub_f32_e32 v1, v1, v2
                                        ; implicit-def: $vgpr2_vgpr3
	s_and_saveexec_b64 s[4:5], vcc
	s_xor_b64 s[4:5], exec, s[4:5]
	s_cbranch_execz .LBB0_17
; %bb.16:
	v_mov_b32_e32 v33, 0
	v_lshl_add_u64 v[2:3], v[32:33], 3, s[2:3]
	global_load_dwordx2 v[6:7], v[2:3], off
	ds_read_b32 v5, v4 offset:12676
	ds_read_b32 v11, v42 offset:4
	v_mov_b32_e32 v8, v1
	v_mov_b32_e32 v10, v0
	;; [unrolled: 1-line block ×3, first 2 shown]
	v_mov_b64_e32 v[2:3], v[32:33]
	s_waitcnt lgkmcnt(0)
	v_add_f32_e32 v9, v5, v11
	v_sub_f32_e32 v11, v11, v5
	v_mov_b32_e32 v12, v9
	s_waitcnt vmcnt(0)
	v_pk_mul_f32 v[14:15], v[8:9], v[6:7] op_sel:[0,1]
	v_pk_fma_f32 v[8:9], v[8:9], v[6:7], v[10:11] op_sel:[0,1,0]
	v_mov_b32_e32 v1, v15
	v_mov_b32_e32 v15, v11
	v_pk_fma_f32 v[16:17], v[6:7], v[12:13], v[8:9] neg_lo:[1,0,0] neg_hi:[1,0,0]
	v_pk_fma_f32 v[8:9], v[6:7], v[12:13], v[8:9] op_sel_hi:[0,1,1]
	v_pk_add_f32 v[0:1], v[0:1], v[14:15] neg_lo:[0,1] neg_hi:[0,1]
	v_mov_b32_e32 v17, v9
	v_pk_fma_f32 v[0:1], v[6:7], v[12:13], v[0:1] op_sel_hi:[0,1,1]
	ds_write_b64 v4, v[0:1] offset:12672
	v_mov_b64_e32 v[0:1], v[16:17]
.LBB0_17:
	s_andn2_saveexec_b64 s[4:5], s[4:5]
	s_cbranch_execz .LBB0_19
; %bb.18:
	v_mov_b32_e32 v5, 0
	ds_read_b64 v[2:3], v5 offset:6336
	s_mov_b32 s12, 2.0
	s_mov_b32 s13, -2.0
	s_waitcnt lgkmcnt(0)
	v_pk_mul_f32 v[2:3], v[2:3], s[12:13]
	ds_write_b64 v5, v[2:3] offset:6336
	v_mov_b64_e32 v[2:3], 0
.LBB0_19:
	s_or_b64 exec, exec, s[4:5]
	v_lshl_add_u64 v[2:3], v[2:3], 3, s[2:3]
	global_load_dwordx2 v[6:7], v[2:3], off offset:1408
	global_load_dwordx2 v[8:9], v[2:3], off offset:2816
	s_movk_i32 s2, 0x1000
	v_add_co_u32_e32 v10, vcc, s2, v2
	ds_write_b64 v42, v[0:1]
	s_nop 0
	v_addc_co_u32_e32 v11, vcc, 0, v3, vcc
	global_load_dwordx2 v[10:11], v[10:11], off offset:128
	ds_read_b64 v[0:1], v4 offset:11264
	ds_read_b64 v[12:13], v42 offset:1408
	s_movk_i32 s2, 0x58
	v_cmp_gt_u32_e64 s[2:3], s2, v32
	s_waitcnt lgkmcnt(0)
	v_pk_add_f32 v[14:15], v[12:13], v[0:1]
	v_pk_add_f32 v[0:1], v[12:13], v[0:1] neg_lo:[0,1] neg_hi:[0,1]
	v_mov_b32_e32 v12, v15
	v_mov_b32_e32 v13, v0
	;; [unrolled: 1-line block ×3, first 2 shown]
	s_waitcnt vmcnt(2)
	v_pk_mul_f32 v[16:17], v[12:13], v[6:7] op_sel:[0,1]
	s_nop 0
	v_pk_add_f32 v[18:19], v[14:15], v[16:17] op_sel:[0,1] op_sel_hi:[1,0]
	v_mov_b32_e32 v15, v16
	v_mov_b32_e32 v0, v17
	v_pk_fma_f32 v[16:17], v[6:7], v[12:13], v[18:19] neg_lo:[1,0,0] neg_hi:[1,0,0]
	v_pk_fma_f32 v[18:19], v[6:7], v[12:13], v[18:19] op_sel_hi:[0,1,1]
	v_pk_add_f32 v[0:1], v[14:15], v[0:1] neg_lo:[0,1] neg_hi:[0,1]
	v_mov_b32_e32 v17, v19
	v_pk_fma_f32 v[0:1], v[6:7], v[12:13], v[0:1] op_sel_hi:[0,1,1]
	ds_write_b64 v42, v[16:17] offset:1408
	ds_write_b64 v4, v[0:1] offset:11264
	ds_read_b64 v[0:1], v4 offset:9856
	ds_read_b64 v[6:7], v42 offset:2816
	s_waitcnt lgkmcnt(0)
	v_pk_add_f32 v[12:13], v[6:7], v[0:1]
	v_pk_add_f32 v[0:1], v[6:7], v[0:1] neg_lo:[0,1] neg_hi:[0,1]
	v_mov_b32_e32 v6, v13
	v_mov_b32_e32 v7, v0
	;; [unrolled: 1-line block ×3, first 2 shown]
	s_waitcnt vmcnt(1)
	v_pk_mul_f32 v[14:15], v[6:7], v[8:9] op_sel:[0,1]
	s_nop 0
	v_pk_add_f32 v[16:17], v[12:13], v[14:15] op_sel:[0,1] op_sel_hi:[1,0]
	v_mov_b32_e32 v13, v14
	v_mov_b32_e32 v0, v15
	v_pk_fma_f32 v[14:15], v[8:9], v[6:7], v[16:17] neg_lo:[1,0,0] neg_hi:[1,0,0]
	v_pk_fma_f32 v[16:17], v[8:9], v[6:7], v[16:17] op_sel_hi:[0,1,1]
	v_pk_add_f32 v[0:1], v[12:13], v[0:1] neg_lo:[0,1] neg_hi:[0,1]
	v_mov_b32_e32 v15, v17
	v_pk_fma_f32 v[0:1], v[8:9], v[6:7], v[0:1] op_sel_hi:[0,1,1]
	ds_write_b64 v42, v[14:15] offset:2816
	ds_write_b64 v4, v[0:1] offset:9856
	ds_read_b64 v[0:1], v4 offset:8448
	ds_read_b64 v[6:7], v42 offset:4224
	s_waitcnt lgkmcnt(0)
	v_pk_add_f32 v[8:9], v[6:7], v[0:1]
	v_pk_add_f32 v[0:1], v[6:7], v[0:1] neg_lo:[0,1] neg_hi:[0,1]
	v_mov_b32_e32 v6, v9
	v_mov_b32_e32 v7, v0
	;; [unrolled: 1-line block ×3, first 2 shown]
	s_waitcnt vmcnt(0)
	v_pk_mul_f32 v[12:13], v[6:7], v[10:11] op_sel:[0,1]
	s_nop 0
	v_pk_add_f32 v[14:15], v[8:9], v[12:13] op_sel:[0,1] op_sel_hi:[1,0]
	v_mov_b32_e32 v9, v12
	v_mov_b32_e32 v0, v13
	v_pk_fma_f32 v[12:13], v[10:11], v[6:7], v[14:15] neg_lo:[1,0,0] neg_hi:[1,0,0]
	v_pk_fma_f32 v[14:15], v[10:11], v[6:7], v[14:15] op_sel_hi:[0,1,1]
	v_pk_add_f32 v[0:1], v[8:9], v[0:1] neg_lo:[0,1] neg_hi:[0,1]
	v_mov_b32_e32 v13, v15
	v_pk_fma_f32 v[0:1], v[10:11], v[6:7], v[0:1] op_sel_hi:[0,1,1]
	ds_write_b64 v42, v[12:13] offset:4224
	ds_write_b64 v4, v[0:1] offset:8448
	s_and_saveexec_b64 s[4:5], s[2:3]
	s_cbranch_execz .LBB0_21
; %bb.20:
	v_add_co_u32_e32 v0, vcc, 0x1000, v2
	s_nop 1
	v_addc_co_u32_e32 v1, vcc, 0, v3, vcc
	global_load_dwordx2 v[0:1], v[0:1], off offset:1536
	ds_read_b64 v[2:3], v4 offset:7040
	ds_read_b64 v[6:7], v42 offset:5632
	s_waitcnt lgkmcnt(0)
	v_pk_add_f32 v[8:9], v[6:7], v[2:3]
	v_pk_add_f32 v[2:3], v[6:7], v[2:3] neg_lo:[0,1] neg_hi:[0,1]
	v_mov_b32_e32 v6, v9
	v_mov_b32_e32 v7, v2
	;; [unrolled: 1-line block ×3, first 2 shown]
	s_waitcnt vmcnt(0)
	v_pk_mul_f32 v[10:11], v[6:7], v[0:1] op_sel:[0,1]
	s_nop 0
	v_pk_add_f32 v[12:13], v[8:9], v[10:11] op_sel:[0,1] op_sel_hi:[1,0]
	v_mov_b32_e32 v9, v10
	v_mov_b32_e32 v2, v11
	v_pk_fma_f32 v[10:11], v[0:1], v[6:7], v[12:13] neg_lo:[1,0,0] neg_hi:[1,0,0]
	v_pk_fma_f32 v[12:13], v[0:1], v[6:7], v[12:13] op_sel_hi:[0,1,1]
	v_pk_add_f32 v[2:3], v[8:9], v[2:3] neg_lo:[0,1] neg_hi:[0,1]
	v_mov_b32_e32 v11, v13
	v_pk_fma_f32 v[0:1], v[0:1], v[6:7], v[2:3] op_sel_hi:[0,1,1]
	ds_write_b64 v42, v[10:11] offset:5632
	ds_write_b64 v4, v[0:1] offset:7040
.LBB0_21:
	s_or_b64 exec, exec, s[4:5]
	v_add_u32_e32 v4, 0x1000, v42
	s_waitcnt lgkmcnt(0)
	s_barrier
	s_barrier
	ds_read2_b64 v[6:9], v4 offset0:60 offset1:236
	v_add_u32_e32 v4, 0x2000, v42
	v_add_u32_e32 v0, 0x800, v42
	ds_read2_b64 v[10:13], v4 offset0:120 offset1:164
	v_add_u32_e32 v4, 0x2a00, v42
	ds_read2_b64 v[0:3], v0 offset0:96 offset1:140
	ds_read2_b64 v[14:17], v4 offset0:20 offset1:196
	v_mad_u32_u24 v35, v32, 24, v42
	v_add_u32_e32 v20, 0xb0, v32
	v_add_u32_e32 v33, 0x160, v32
	s_waitcnt lgkmcnt(1)
	v_pk_add_f32 v[18:19], v[0:1], v[10:11] neg_lo:[0,1] neg_hi:[0,1]
	s_waitcnt lgkmcnt(0)
	v_pk_add_f32 v[26:27], v[8:9], v[16:17] neg_lo:[0,1] neg_hi:[0,1]
	v_pk_fma_f32 v[0:1], v[0:1], 2.0, v[18:19] op_sel_hi:[1,0,1] neg_lo:[0,0,1] neg_hi:[0,0,1]
	v_pk_fma_f32 v[4:5], v[8:9], 2.0, v[26:27] op_sel_hi:[1,0,1] neg_lo:[0,0,1] neg_hi:[0,0,1]
	ds_read2_b64 v[8:11], v42 offset1:176
	v_pk_add_f32 v[40:41], v[0:1], v[4:5] neg_lo:[0,1] neg_hi:[0,1]
	v_add_u32_e32 v4, 0x1800, v42
	ds_read2_b64 v[22:25], v4 offset0:24 offset1:200
	v_pk_fma_f32 v[16:17], v[0:1], 2.0, v[40:41] op_sel_hi:[1,0,1] neg_lo:[0,0,1] neg_hi:[0,0,1]
	v_pk_add_f32 v[0:1], v[18:19], v[26:27] op_sel:[0,1] op_sel_hi:[1,0]
	v_pk_add_f32 v[26:27], v[18:19], v[26:27] op_sel:[0,1] op_sel_hi:[1,0] neg_lo:[0,1] neg_hi:[0,1]
	v_pk_add_f32 v[12:13], v[2:3], v[12:13] neg_lo:[0,1] neg_hi:[0,1]
	s_waitcnt lgkmcnt(0)
	v_pk_add_f32 v[22:23], v[8:9], v[22:23] neg_lo:[0,1] neg_hi:[0,1]
	v_mov_b32_e32 v1, v27
	v_pk_fma_f32 v[8:9], v[8:9], 2.0, v[22:23] op_sel_hi:[1,0,1] neg_lo:[0,0,1] neg_hi:[0,0,1]
	v_pk_fma_f32 v[2:3], v[2:3], 2.0, v[12:13] op_sel_hi:[1,0,1] neg_lo:[0,0,1] neg_hi:[0,0,1]
	v_pk_add_f32 v[26:27], v[22:23], v[12:13] op_sel:[0,1] op_sel_hi:[1,0]
	v_pk_add_f32 v[12:13], v[22:23], v[12:13] op_sel:[0,1] op_sel_hi:[1,0] neg_lo:[0,1] neg_hi:[0,1]
	v_pk_add_f32 v[2:3], v[8:9], v[2:3] neg_lo:[0,1] neg_hi:[0,1]
	v_mov_b32_e32 v27, v13
	v_pk_fma_f32 v[8:9], v[8:9], 2.0, v[2:3] op_sel_hi:[1,0,1] neg_lo:[0,0,1] neg_hi:[0,0,1]
	v_pk_fma_f32 v[22:23], v[22:23], 2.0, v[26:27] op_sel_hi:[1,0,1] neg_lo:[0,0,1] neg_hi:[0,0,1]
	v_pk_add_f32 v[24:25], v[10:11], v[24:25] neg_lo:[0,1] neg_hi:[0,1]
	v_pk_add_f32 v[14:15], v[6:7], v[14:15] neg_lo:[0,1] neg_hi:[0,1]
	v_pk_fma_f32 v[10:11], v[10:11], 2.0, v[24:25] op_sel_hi:[1,0,1] neg_lo:[0,0,1] neg_hi:[0,0,1]
	v_pk_fma_f32 v[6:7], v[6:7], 2.0, v[14:15] op_sel_hi:[1,0,1] neg_lo:[0,0,1] neg_hi:[0,0,1]
	s_barrier
	ds_write2_b64 v35, v[8:9], v[22:23] offset1:1
	ds_write2_b64 v35, v[2:3], v[26:27] offset0:2 offset1:3
	v_pk_add_f32 v[2:3], v[24:25], v[14:15] op_sel:[0,1] op_sel_hi:[1,0]
	v_pk_add_f32 v[8:9], v[24:25], v[14:15] op_sel:[0,1] op_sel_hi:[1,0] neg_lo:[0,1] neg_hi:[0,1]
	v_pk_add_f32 v[6:7], v[10:11], v[6:7] neg_lo:[0,1] neg_hi:[0,1]
	v_mov_b32_e32 v3, v9
	v_pk_fma_f32 v[18:19], v[18:19], 2.0, v[0:1] op_sel_hi:[1,0,1] neg_lo:[0,0,1] neg_hi:[0,0,1]
	v_lshl_add_u32 v5, v20, 5, 0
	v_pk_fma_f32 v[10:11], v[10:11], 2.0, v[6:7] op_sel_hi:[1,0,1] neg_lo:[0,0,1] neg_hi:[0,0,1]
	v_pk_fma_f32 v[12:13], v[24:25], 2.0, v[2:3] op_sel_hi:[1,0,1] neg_lo:[0,0,1] neg_hi:[0,0,1]
	v_cmp_gt_u32_e32 vcc, 44, v32
	ds_write2_b64 v5, v[10:11], v[12:13] offset1:1
	ds_write2_b64 v5, v[6:7], v[2:3] offset0:2 offset1:3
	s_and_saveexec_b64 s[4:5], vcc
	s_cbranch_execz .LBB0_23
; %bb.22:
	v_lshl_add_u32 v2, v33, 5, 0
	ds_write2_b64 v2, v[16:17], v[18:19] offset1:1
	ds_write2_b64 v2, v[40:41], v[0:1] offset0:2 offset1:3
.LBB0_23:
	s_or_b64 exec, exec, s[4:5]
	s_waitcnt lgkmcnt(0)
	s_barrier
	ds_read2_b64 v[0:3], v42 offset1:176
	ds_read2_b64 v[8:11], v4 offset0:24 offset1:200
	v_add_u32_e32 v4, 0xa00, v42
	v_add_u32_e32 v12, 0x2200, v42
	ds_read2_b64 v[4:7], v4 offset0:32 offset1:208
	ds_read2_b64 v[12:15], v12 offset0:56 offset1:232
	s_and_saveexec_b64 s[4:5], s[2:3]
	s_cbranch_execz .LBB0_25
; %bb.24:
	s_movk_i32 s12, 0xffe8
	v_mad_i32_i24 v16, v32, s12, v35
	ds_read_b64 v[16:17], v16 offset:5632
	ds_read_b64 v[18:19], v42 offset:11968
.LBB0_25:
	s_or_b64 exec, exec, s[4:5]
	v_and_b32_e32 v21, 3, v32
	v_lshlrev_b32_e32 v22, 3, v21
	global_load_dwordx2 v[22:23], v22, s[8:9]
	v_lshlrev_b32_e32 v34, 1, v32
	v_lshlrev_b32_e32 v38, 1, v20
	s_movk_i32 s5, 0x3f8
	v_lshlrev_b32_e32 v36, 1, v33
	s_movk_i32 s12, 0x7f8
	v_and_or_b32 v25, v38, s5, v21
	v_add_u32_e32 v39, 0x420, v34
	s_waitcnt lgkmcnt(0)
	v_mov_b32_e32 v24, v19
	v_and_or_b32 v26, v36, s12, v21
	v_lshl_add_u32 v43, v25, 3, 0
	v_and_or_b32 v25, v39, s12, v21
	v_lshl_add_u32 v52, v26, 3, 0
	v_lshl_add_u32 v53, v25, 3, 0
	s_movk_i32 s4, 0x1f8
	v_add_u32_e32 v37, 0x2c0, v32
	v_and_or_b32 v20, v34, s4, v21
	v_lshl_add_u32 v20, v20, 3, 0
	v_lshlrev_b32_e32 v37, 1, v37
	s_barrier
	s_waitcnt vmcnt(0)
	v_pk_mul_f32 v[24:25], v[24:25], v[22:23] op_sel_hi:[0,1]
	v_pk_mul_f32 v[26:27], v[22:23], v[8:9] op_sel:[0,1]
	v_pk_mul_f32 v[44:45], v[22:23], v[10:11] op_sel:[0,1]
	;; [unrolled: 1-line block ×4, first 2 shown]
	v_pk_fma_f32 v[50:51], v[18:19], v[22:23], v[24:25] op_sel:[0,0,1] op_sel_hi:[1,1,0]
	v_pk_fma_f32 v[18:19], v[18:19], v[22:23], v[24:25] op_sel:[0,0,1] op_sel_hi:[0,1,0] neg_lo:[1,0,0] neg_hi:[1,0,0]
	v_pk_fma_f32 v[24:25], v[22:23], v[8:9], v[26:27] op_sel:[0,0,1] op_sel_hi:[1,1,0]
	v_pk_fma_f32 v[8:9], v[22:23], v[8:9], v[26:27] op_sel:[0,0,1] op_sel_hi:[1,0,0] neg_lo:[1,0,0] neg_hi:[1,0,0]
	;; [unrolled: 2-line block ×5, first 2 shown]
	v_mov_b32_e32 v51, v19
	v_mov_b32_e32 v25, v9
	;; [unrolled: 1-line block ×5, first 2 shown]
	v_pk_add_f32 v[10:11], v[16:17], v[50:51] neg_lo:[0,1] neg_hi:[0,1]
	v_pk_add_f32 v[12:13], v[0:1], v[24:25] neg_lo:[0,1] neg_hi:[0,1]
	;; [unrolled: 1-line block ×5, first 2 shown]
	v_pk_fma_f32 v[8:9], v[16:17], 2.0, v[10:11] op_sel_hi:[1,0,1] neg_lo:[0,0,1] neg_hi:[0,0,1]
	v_pk_fma_f32 v[0:1], v[0:1], 2.0, v[12:13] op_sel_hi:[1,0,1] neg_lo:[0,0,1] neg_hi:[0,0,1]
	;; [unrolled: 1-line block ×5, first 2 shown]
	ds_write2_b64 v20, v[0:1], v[12:13] offset1:4
	ds_write2_b64 v43, v[2:3], v[14:15] offset1:4
	;; [unrolled: 1-line block ×4, first 2 shown]
	s_and_saveexec_b64 s[4:5], s[2:3]
	s_cbranch_execz .LBB0_27
; %bb.26:
	v_and_or_b32 v0, v37, s12, v21
	v_lshl_add_u32 v0, v0, 3, 0
	ds_write2_b64 v0, v[8:9], v[10:11] offset1:4
.LBB0_27:
	s_or_b64 exec, exec, s[4:5]
	v_add_u32_e32 v4, 0xa00, v42
	s_waitcnt lgkmcnt(0)
	s_barrier
	v_add_u32_e32 v0, 0x1800, v42
	ds_read2_b64 v[24:27], v4 offset0:32 offset1:208
	v_add_u32_e32 v4, 0x2200, v42
	ds_read2_b64 v[20:23], v42 offset1:176
	ds_read2_b64 v[0:3], v0 offset0:24 offset1:200
	ds_read2_b64 v[4:7], v4 offset0:56 offset1:232
	s_and_saveexec_b64 s[4:5], s[2:3]
	s_cbranch_execz .LBB0_29
; %bb.28:
	s_movk_i32 s12, 0xffe8
	v_mad_i32_i24 v8, v32, s12, v35
	ds_read_b64 v[8:9], v8 offset:5632
	ds_read_b64 v[10:11], v42 offset:11968
.LBB0_29:
	s_or_b64 exec, exec, s[4:5]
	v_and_b32_e32 v35, 7, v32
	v_lshlrev_b32_e32 v12, 3, v35
	global_load_dwordx2 v[12:13], v12, s[8:9] offset:32
	s_movk_i32 s5, 0x3f0
	s_movk_i32 s12, 0x7f0
	s_waitcnt lgkmcnt(0)
	v_mov_b32_e32 v14, v11
	s_movk_i32 s4, 0x1f0
	v_and_or_b32 v15, v38, s5, v35
	v_and_or_b32 v16, v36, s12, v35
	;; [unrolled: 1-line block ×4, first 2 shown]
	v_lshl_add_u32 v43, v15, 3, 0
	v_lshl_add_u32 v52, v16, 3, 0
	v_lshl_add_u32 v53, v17, 3, 0
	v_lshl_add_u32 v39, v11, 3, 0
	s_barrier
	s_waitcnt vmcnt(0)
	v_pk_mul_f32 v[16:17], v[12:13], v[0:1] op_sel:[0,1]
	v_pk_mul_f32 v[14:15], v[14:15], v[12:13] op_sel_hi:[0,1]
	v_pk_mul_f32 v[18:19], v[12:13], v[2:3] op_sel:[0,1]
	v_pk_mul_f32 v[44:45], v[12:13], v[4:5] op_sel:[0,1]
	;; [unrolled: 1-line block ×3, first 2 shown]
	v_pk_fma_f32 v[48:49], v[12:13], v[0:1], v[16:17] op_sel:[0,0,1] op_sel_hi:[1,1,0]
	v_pk_fma_f32 v[0:1], v[12:13], v[0:1], v[16:17] op_sel:[0,0,1] op_sel_hi:[1,0,0] neg_lo:[1,0,0] neg_hi:[1,0,0]
	v_pk_fma_f32 v[16:17], v[10:11], v[12:13], v[14:15] op_sel:[0,0,1] op_sel_hi:[1,1,0]
	v_pk_fma_f32 v[10:11], v[10:11], v[12:13], v[14:15] op_sel:[0,0,1] op_sel_hi:[0,1,0] neg_lo:[1,0,0] neg_hi:[1,0,0]
	;; [unrolled: 2-line block ×5, first 2 shown]
	v_mov_b32_e32 v49, v1
	v_mov_b32_e32 v17, v11
	;; [unrolled: 1-line block ×5, first 2 shown]
	v_pk_add_f32 v[2:3], v[20:21], v[48:49] neg_lo:[0,1] neg_hi:[0,1]
	v_pk_add_f32 v[18:19], v[8:9], v[16:17] neg_lo:[0,1] neg_hi:[0,1]
	;; [unrolled: 1-line block ×5, first 2 shown]
	v_pk_fma_f32 v[0:1], v[20:21], 2.0, v[2:3] op_sel_hi:[1,0,1] neg_lo:[0,0,1] neg_hi:[0,0,1]
	v_pk_fma_f32 v[16:17], v[8:9], 2.0, v[18:19] op_sel_hi:[1,0,1] neg_lo:[0,0,1] neg_hi:[0,0,1]
	;; [unrolled: 1-line block ×5, first 2 shown]
	ds_write2_b64 v39, v[0:1], v[2:3] offset1:8
	ds_write2_b64 v43, v[8:9], v[10:11] offset1:8
	;; [unrolled: 1-line block ×4, first 2 shown]
	s_and_saveexec_b64 s[4:5], s[2:3]
	s_cbranch_execz .LBB0_31
; %bb.30:
	v_and_or_b32 v20, v37, s12, v35
	v_lshl_add_u32 v20, v20, 3, 0
	ds_write2_b64 v20, v[16:17], v[18:19] offset1:8
.LBB0_31:
	s_or_b64 exec, exec, s[4:5]
	s_movk_i32 s2, 0x90
	v_cmp_gt_u32_e32 vcc, s2, v32
	s_waitcnt lgkmcnt(0)
	s_barrier
	s_and_saveexec_b64 s[2:3], vcc
	s_cbranch_execz .LBB0_33
; %bb.32:
	v_add_u32_e32 v4, 0x800, v42
	ds_read2_b64 v[8:11], v4 offset0:32 offset1:176
	v_add_u32_e32 v4, 0x1000, v42
	v_add_u32_e32 v12, 0x1800, v42
	;; [unrolled: 1-line block ×3, first 2 shown]
	ds_read2_b64 v[0:3], v42 offset1:144
	ds_read2_b64 v[4:7], v4 offset0:64 offset1:208
	ds_read2_b64 v[12:15], v12 offset0:96 offset1:240
	ds_read2_b64 v[16:19], v16 offset1:144
	ds_read_b64 v[40:41], v42 offset:11520
.LBB0_33:
	s_or_b64 exec, exec, s[2:3]
	s_waitcnt lgkmcnt(0)
	s_barrier
	s_and_saveexec_b64 s[2:3], vcc
	s_cbranch_execz .LBB0_35
; %bb.34:
	v_and_b32_e32 v35, 15, v32
	v_mul_u32_u24_e32 v20, 10, v35
	v_lshlrev_b32_e32 v37, 3, v20
	global_load_dwordx4 v[20:23], v37, s[8:9] offset:160
	global_load_dwordx4 v[24:27], v37, s[8:9] offset:96
	;; [unrolled: 1-line block ×5, first 2 shown]
	v_mov_b32_e32 v56, v3
	v_mov_b32_e32 v58, v9
	;; [unrolled: 1-line block ×9, first 2 shown]
	s_mov_b32 s22, 0xbf0a6770
	s_mov_b32 s16, 0x3f575c64
	;; [unrolled: 1-line block ×12, first 2 shown]
	s_waitcnt vmcnt(4)
	v_pk_mul_f32 v[74:75], v[40:41], v[22:23] op_sel:[1,0]
	v_pk_mul_f32 v[60:61], v[60:61], v[20:21] op_sel_hi:[0,1]
	s_waitcnt vmcnt(3)
	v_pk_mul_f32 v[58:59], v[58:59], v[26:27] op_sel_hi:[0,1]
	s_waitcnt vmcnt(2)
	;; [unrolled: 2-line block ×3, first 2 shown]
	v_pk_mul_f32 v[64:65], v[64:65], v[50:51] op_sel_hi:[0,1]
	v_pk_mul_f32 v[68:69], v[68:69], v[48:49] op_sel_hi:[0,1]
	;; [unrolled: 1-line block ×4, first 2 shown]
	s_waitcnt vmcnt(0)
	v_pk_mul_f32 v[70:71], v[70:71], v[52:53] op_sel_hi:[0,1]
	v_pk_mul_f32 v[72:73], v[72:73], v[54:55] op_sel_hi:[0,1]
	v_pk_fma_f32 v[76:77], v[40:41], v[22:23], v[74:75] op_sel:[0,0,1] op_sel_hi:[1,1,0]
	v_pk_fma_f32 v[22:23], v[40:41], v[22:23], v[74:75] op_sel:[0,0,1] op_sel_hi:[0,1,0] neg_lo:[1,0,0] neg_hi:[1,0,0]
	v_pk_fma_f32 v[40:41], v[18:19], v[20:21], v[60:61] op_sel:[0,0,1] op_sel_hi:[1,1,0]
	v_pk_fma_f32 v[18:19], v[18:19], v[20:21], v[60:61] op_sel:[0,0,1] op_sel_hi:[0,1,0] neg_lo:[1,0,0] neg_hi:[1,0,0]
	;; [unrolled: 2-line block ×10, first 2 shown]
	v_mov_b32_e32 v77, v23
	v_mov_b32_e32 v53, v3
	;; [unrolled: 1-line block ×4, first 2 shown]
	v_pk_add_f32 v[18:19], v[52:53], v[76:77] neg_lo:[0,1] neg_hi:[0,1]
	v_mov_b32_e32 v21, v17
	v_mov_b32_e32 v27, v11
	v_pk_add_f32 v[16:17], v[52:53], v[76:77]
	v_pk_add_f32 v[24:25], v[50:51], v[40:41] neg_lo:[0,1] neg_hi:[0,1]
	v_pk_mul_f32 v[2:3], v[18:19], s[22:23] op_sel_hi:[1,0]
	v_pk_add_f32 v[52:53], v[0:1], v[52:53]
	v_mov_b32_e32 v45, v15
	v_mov_b32_e32 v49, v5
	;; [unrolled: 1-line block ×3, first 2 shown]
	v_pk_add_f32 v[22:23], v[50:51], v[40:41]
	v_pk_add_f32 v[58:59], v[26:27], v[20:21] neg_lo:[0,1] neg_hi:[0,1]
	v_pk_mul_f32 v[4:5], v[24:25], s[24:25] op_sel_hi:[1,0]
	v_pk_fma_f32 v[10:11], v[16:17], s[16:17], v[2:3] op_sel:[0,0,1] op_sel_hi:[1,0,0]
	v_pk_fma_f32 v[12:13], v[16:17], s[16:17], v[2:3] op_sel:[0,0,1] op_sel_hi:[1,0,0] neg_lo:[0,0,1] neg_hi:[0,0,1]
	v_pk_add_f32 v[50:51], v[52:53], v[50:51]
	v_mov_b32_e32 v55, v7
	v_pk_add_f32 v[56:57], v[26:27], v[20:21]
	v_pk_add_f32 v[62:63], v[48:49], v[44:45] neg_lo:[0,1] neg_hi:[0,1]
	v_pk_mul_f32 v[14:15], v[58:59], s[14:15] op_sel_hi:[1,0]
	v_pk_fma_f32 v[6:7], v[22:23], s[4:5], v[4:5] op_sel:[0,0,1] op_sel_hi:[1,0,0]
	v_pk_fma_f32 v[8:9], v[22:23], s[4:5], v[4:5] op_sel:[0,0,1] op_sel_hi:[1,0,0] neg_lo:[0,0,1] neg_hi:[0,0,1]
	v_mov_b32_e32 v66, v10
	v_mov_b32_e32 v67, v13
	v_pk_add_f32 v[26:27], v[50:51], v[26:27]
	v_pk_add_f32 v[60:61], v[48:49], v[44:45]
	v_pk_mul_f32 v[64:65], v[62:63], s[20:21] op_sel_hi:[1,0]
	v_pk_fma_f32 v[2:3], v[56:57], s[12:13], v[14:15] op_sel:[0,0,1] op_sel_hi:[1,0,0]
	v_pk_fma_f32 v[4:5], v[56:57], s[12:13], v[14:15] op_sel:[0,0,1] op_sel_hi:[1,0,0] neg_lo:[0,0,1] neg_hi:[0,0,1]
	v_mov_b32_e32 v68, v6
	v_mov_b32_e32 v69, v9
	v_pk_add_f32 v[66:67], v[0:1], v[66:67]
	v_pk_add_f32 v[26:27], v[26:27], v[48:49]
	v_pk_fma_f32 v[14:15], v[60:61], s[18:19], v[64:65] op_sel:[0,0,1] op_sel_hi:[1,0,0]
	v_mov_b32_e32 v70, v2
	v_mov_b32_e32 v71, v5
	v_pk_add_f32 v[66:67], v[68:69], v[66:67]
	v_pk_fma_f32 v[64:65], v[60:61], s[18:19], v[64:65] op_sel:[0,0,1] op_sel_hi:[1,0,0] neg_lo:[0,0,1] neg_hi:[0,0,1]
	v_pk_add_f32 v[26:27], v[26:27], v[54:55]
	v_pk_add_f32 v[66:67], v[70:71], v[66:67]
	v_mov_b32_e32 v68, v14
	v_mov_b32_e32 v69, v65
	v_pk_add_f32 v[70:71], v[54:55], v[46:47] neg_lo:[0,1] neg_hi:[0,1]
	v_pk_add_f32 v[26:27], v[26:27], v[46:47]
	v_pk_add_f32 v[66:67], v[68:69], v[66:67]
	;; [unrolled: 1-line block ×3, first 2 shown]
	v_pk_mul_f32 v[72:73], v[70:71], s[28:29] op_sel_hi:[1,0]
	v_lshrrev_b32_e32 v2, 4, v32
	v_pk_add_f32 v[26:27], v[26:27], v[44:45]
	v_pk_fma_f32 v[74:75], v[68:69], s[26:27], v[72:73] op_sel:[0,0,1] op_sel_hi:[1,0,0]
	v_pk_fma_f32 v[72:73], v[68:69], s[26:27], v[72:73] op_sel:[0,0,1] op_sel_hi:[1,0,0] neg_lo:[0,0,1] neg_hi:[0,0,1]
	v_mul_u32_u24_e32 v2, 0xb0, v2
	v_pk_add_f32 v[20:21], v[26:27], v[20:21]
	v_mov_b32_e32 v78, v74
	v_mov_b32_e32 v79, v73
	v_or_b32_e32 v2, v2, v35
	v_pk_add_f32 v[20:21], v[20:21], v[40:41]
	v_pk_add_f32 v[66:67], v[78:79], v[66:67]
	v_lshl_add_u32 v2, v2, 3, 0
	v_pk_add_f32 v[20:21], v[20:21], v[76:77]
	ds_write2_b64 v2, v[20:21], v[66:67] offset1:16
	v_pk_mul_f32 v[20:21], v[18:19], s[24:25] op_sel_hi:[1,0]
	v_pk_mul_f32 v[26:27], v[24:25], s[20:21] op_sel_hi:[1,0]
	v_pk_fma_f32 v[40:41], v[16:17], s[4:5], v[20:21] op_sel:[0,0,1] op_sel_hi:[1,0,0]
	v_pk_fma_f32 v[20:21], v[16:17], s[4:5], v[20:21] op_sel:[0,0,1] op_sel_hi:[1,0,0] neg_lo:[0,0,1] neg_hi:[0,0,1]
	v_mov_b32_e32 v44, v40
	v_mov_b32_e32 v45, v21
	v_pk_fma_f32 v[46:47], v[22:23], s[18:19], v[26:27] op_sel:[0,0,1] op_sel_hi:[1,0,0]
	v_pk_fma_f32 v[26:27], v[22:23], s[18:19], v[26:27] op_sel:[0,0,1] op_sel_hi:[1,0,0] neg_lo:[0,0,1] neg_hi:[0,0,1]
	s_mov_b32 s24, 0x3e903f40
	v_pk_add_f32 v[44:45], v[0:1], v[44:45]
	v_mov_b32_e32 v48, v46
	v_mov_b32_e32 v49, v27
	v_pk_add_f32 v[44:45], v[48:49], v[44:45]
	v_pk_mul_f32 v[48:49], v[58:59], s[24:25] op_sel_hi:[1,0]
	v_pk_mul_f32 v[84:85], v[24:25], s[24:25] op_sel_hi:[1,0]
	v_pk_fma_f32 v[50:51], v[56:57], s[26:27], v[48:49] op_sel:[0,0,1] op_sel_hi:[1,0,0]
	v_pk_fma_f32 v[48:49], v[56:57], s[26:27], v[48:49] op_sel:[0,0,1] op_sel_hi:[1,0,0] neg_lo:[0,0,1] neg_hi:[0,0,1]
	v_mov_b32_e32 v52, v50
	v_mov_b32_e32 v53, v49
	v_pk_add_f32 v[44:45], v[52:53], v[44:45]
	v_pk_mul_f32 v[52:53], v[62:63], s[30:31] op_sel_hi:[1,0]
	v_pk_fma_f32 v[86:87], v[22:23], s[26:27], v[84:85] op_sel:[0,0,1] op_sel_hi:[1,0,0]
	v_pk_fma_f32 v[54:55], v[60:61], s[12:13], v[52:53] op_sel:[0,0,1] op_sel_hi:[1,0,0]
	v_pk_fma_f32 v[52:53], v[60:61], s[12:13], v[52:53] op_sel:[0,0,1] op_sel_hi:[1,0,0] neg_lo:[0,0,1] neg_hi:[0,0,1]
	v_mov_b32_e32 v66, v54
	v_mov_b32_e32 v67, v53
	v_pk_add_f32 v[44:45], v[66:67], v[44:45]
	v_pk_mul_f32 v[66:67], v[70:71], s[34:35] op_sel_hi:[1,0]
	v_pk_fma_f32 v[84:85], v[22:23], s[26:27], v[84:85] op_sel:[0,0,1] op_sel_hi:[1,0,0] neg_lo:[0,0,1] neg_hi:[0,0,1]
	v_pk_fma_f32 v[76:77], v[68:69], s[16:17], v[66:67] op_sel:[0,0,1] op_sel_hi:[1,0,0]
	v_pk_fma_f32 v[66:67], v[68:69], s[16:17], v[66:67] op_sel:[0,0,1] op_sel_hi:[1,0,0] neg_lo:[0,0,1] neg_hi:[0,0,1]
	v_mov_b32_e32 v78, v76
	v_mov_b32_e32 v79, v67
	v_pk_add_f32 v[44:45], v[78:79], v[44:45]
	v_pk_mul_f32 v[78:79], v[18:19], s[14:15] op_sel_hi:[1,0]
	v_mov_b32_e32 v88, v86
	v_pk_fma_f32 v[80:81], v[16:17], s[12:13], v[78:79] op_sel:[0,0,1] op_sel_hi:[1,0,0]
	v_pk_fma_f32 v[78:79], v[16:17], s[12:13], v[78:79] op_sel:[0,0,1] op_sel_hi:[1,0,0] neg_lo:[0,0,1] neg_hi:[0,0,1]
	v_mov_b32_e32 v82, v80
	v_mov_b32_e32 v83, v79
	v_pk_add_f32 v[82:83], v[0:1], v[82:83]
	v_mov_b32_e32 v89, v85
	s_mov_b32 s24, 0x3f68dda4
	v_pk_add_f32 v[82:83], v[88:89], v[82:83]
	v_pk_mul_f32 v[88:89], v[58:59], s[24:25] op_sel_hi:[1,0]
	v_pk_mul_f32 v[102:103], v[24:25], s[30:31] op_sel_hi:[1,0]
	v_pk_fma_f32 v[90:91], v[56:57], s[4:5], v[88:89] op_sel:[0,0,1] op_sel_hi:[1,0,0]
	v_pk_fma_f32 v[88:89], v[56:57], s[4:5], v[88:89] op_sel:[0,0,1] op_sel_hi:[1,0,0] neg_lo:[0,0,1] neg_hi:[0,0,1]
	v_mov_b32_e32 v92, v90
	v_mov_b32_e32 v93, v89
	v_pk_add_f32 v[82:83], v[92:93], v[82:83]
	v_pk_mul_f32 v[92:93], v[62:63], s[22:23] op_sel_hi:[1,0]
	v_pk_fma_f32 v[104:105], v[22:23], s[12:13], v[102:103] op_sel:[0,0,1] op_sel_hi:[1,0,0]
	v_pk_fma_f32 v[94:95], v[60:61], s[16:17], v[92:93] op_sel:[0,0,1] op_sel_hi:[1,0,0]
	v_pk_fma_f32 v[92:93], v[60:61], s[16:17], v[92:93] op_sel:[0,0,1] op_sel_hi:[1,0,0] neg_lo:[0,0,1] neg_hi:[0,0,1]
	v_mov_b32_e32 v96, v94
	v_mov_b32_e32 v97, v93
	v_pk_add_f32 v[82:83], v[96:97], v[82:83]
	v_pk_mul_f32 v[96:97], v[70:71], s[20:21] op_sel_hi:[1,0]
	v_pk_fma_f32 v[102:103], v[22:23], s[12:13], v[102:103] op_sel:[0,0,1] op_sel_hi:[1,0,0] neg_lo:[0,0,1] neg_hi:[0,0,1]
	v_pk_fma_f32 v[98:99], v[68:69], s[18:19], v[96:97] op_sel:[0,0,1] op_sel_hi:[1,0,0]
	v_pk_fma_f32 v[96:97], v[68:69], s[18:19], v[96:97] op_sel:[0,0,1] op_sel_hi:[1,0,0] neg_lo:[0,0,1] neg_hi:[0,0,1]
	v_mov_b32_e32 v100, v98
	v_mov_b32_e32 v101, v97
	v_pk_add_f32 v[82:83], v[100:101], v[82:83]
	ds_write2_b64 v2, v[44:45], v[82:83] offset0:32 offset1:48
	v_pk_mul_f32 v[44:45], v[18:19], s[20:21] op_sel_hi:[1,0]
	v_mov_b32_e32 v106, v104
	v_pk_fma_f32 v[82:83], v[16:17], s[18:19], v[44:45] op_sel:[0,0,1] op_sel_hi:[1,0,0]
	v_pk_fma_f32 v[44:45], v[16:17], s[18:19], v[44:45] op_sel:[0,0,1] op_sel_hi:[1,0,0] neg_lo:[0,0,1] neg_hi:[0,0,1]
	v_mov_b32_e32 v100, v82
	v_mov_b32_e32 v101, v45
	v_pk_add_f32 v[100:101], v[0:1], v[100:101]
	v_mov_b32_e32 v107, v103
	v_pk_add_f32 v[100:101], v[106:107], v[100:101]
	v_pk_mul_f32 v[106:107], v[58:59], s[22:23] op_sel_hi:[1,0]
	v_pk_mul_f32 v[18:19], v[18:19], s[28:29] op_sel_hi:[1,0]
	v_pk_fma_f32 v[108:109], v[56:57], s[16:17], v[106:107] op_sel:[0,0,1] op_sel_hi:[1,0,0]
	v_pk_fma_f32 v[106:107], v[56:57], s[16:17], v[106:107] op_sel:[0,0,1] op_sel_hi:[1,0,0] neg_lo:[0,0,1] neg_hi:[0,0,1]
	v_mov_b32_e32 v110, v108
	v_mov_b32_e32 v111, v107
	v_pk_add_f32 v[100:101], v[110:111], v[100:101]
	v_pk_mul_f32 v[110:111], v[62:63], s[28:29] op_sel_hi:[1,0]
	v_pk_mul_f32 v[58:59], v[58:59], s[20:21] op_sel_hi:[1,0]
	v_pk_fma_f32 v[112:113], v[60:61], s[26:27], v[110:111] op_sel:[0,0,1] op_sel_hi:[1,0,0]
	v_pk_fma_f32 v[110:111], v[60:61], s[26:27], v[110:111] op_sel:[0,0,1] op_sel_hi:[1,0,0] neg_lo:[0,0,1] neg_hi:[0,0,1]
	v_mov_b32_e32 v114, v112
	v_mov_b32_e32 v115, v111
	v_pk_add_f32 v[100:101], v[114:115], v[100:101]
	v_pk_mul_f32 v[114:115], v[70:71], s[24:25] op_sel_hi:[1,0]
	v_mov_b32_e32 v45, v83
	v_pk_fma_f32 v[116:117], v[68:69], s[4:5], v[114:115] op_sel:[0,0,1] op_sel_hi:[1,0,0]
	v_pk_fma_f32 v[114:115], v[68:69], s[4:5], v[114:115] op_sel:[0,0,1] op_sel_hi:[1,0,0] neg_lo:[0,0,1] neg_hi:[0,0,1]
	v_mov_b32_e32 v118, v116
	v_mov_b32_e32 v119, v115
	v_pk_add_f32 v[100:101], v[118:119], v[100:101]
	v_pk_fma_f32 v[118:119], v[16:17], s[26:27], v[18:19] op_sel:[0,0,1] op_sel_hi:[1,0,0]
	v_pk_fma_f32 v[16:17], v[16:17], s[26:27], v[18:19] op_sel:[0,0,1] op_sel_hi:[1,0,0] neg_lo:[0,0,1] neg_hi:[0,0,1]
	v_pk_mul_f32 v[18:19], v[24:25], s[34:35] op_sel_hi:[1,0]
	v_mov_b32_e32 v103, v105
	v_pk_fma_f32 v[24:25], v[22:23], s[16:17], v[18:19] op_sel:[0,0,1] op_sel_hi:[1,0,0]
	v_pk_fma_f32 v[18:19], v[22:23], s[16:17], v[18:19] op_sel:[0,0,1] op_sel_hi:[1,0,0] neg_lo:[0,0,1] neg_hi:[0,0,1]
	v_mov_b32_e32 v22, v118
	v_mov_b32_e32 v23, v17
	v_pk_add_f32 v[22:23], v[0:1], v[22:23]
	v_mov_b32_e32 v120, v24
	v_mov_b32_e32 v121, v19
	v_pk_add_f32 v[22:23], v[120:121], v[22:23]
	v_pk_fma_f32 v[120:121], v[56:57], s[18:19], v[58:59] op_sel:[0,0,1] op_sel_hi:[1,0,0]
	v_pk_fma_f32 v[56:57], v[56:57], s[18:19], v[58:59] op_sel:[0,0,1] op_sel_hi:[1,0,0] neg_lo:[0,0,1] neg_hi:[0,0,1]
	v_mov_b32_e32 v58, v120
	v_mov_b32_e32 v59, v57
	v_pk_add_f32 v[22:23], v[58:59], v[22:23]
	v_pk_mul_f32 v[58:59], v[62:63], s[24:25] op_sel_hi:[1,0]
	v_mov_b32_e32 v17, v119
	v_pk_fma_f32 v[62:63], v[60:61], s[4:5], v[58:59] op_sel:[0,0,1] op_sel_hi:[1,0,0]
	v_pk_fma_f32 v[58:59], v[60:61], s[4:5], v[58:59] op_sel:[0,0,1] op_sel_hi:[1,0,0] neg_lo:[0,0,1] neg_hi:[0,0,1]
	v_mov_b32_e32 v19, v25
	v_pk_add_f32 v[16:17], v[0:1], v[16:17]
	v_mov_b32_e32 v60, v62
	v_mov_b32_e32 v61, v59
	v_pk_add_f32 v[16:17], v[18:19], v[16:17]
	v_pk_add_f32 v[18:19], v[0:1], v[44:45]
	;; [unrolled: 1-line block ×3, first 2 shown]
	v_pk_mul_f32 v[60:61], v[70:71], s[14:15] op_sel_hi:[1,0]
	v_mov_b32_e32 v57, v121
	v_pk_add_f32 v[18:19], v[102:103], v[18:19]
	v_mov_b32_e32 v107, v109
	v_pk_fma_f32 v[70:71], v[68:69], s[12:13], v[60:61] op_sel:[0,0,1] op_sel_hi:[1,0,0]
	v_pk_fma_f32 v[60:61], v[68:69], s[12:13], v[60:61] op_sel:[0,0,1] op_sel_hi:[1,0,0] neg_lo:[0,0,1] neg_hi:[0,0,1]
	v_pk_add_f32 v[16:17], v[56:57], v[16:17]
	v_mov_b32_e32 v59, v63
	v_pk_add_f32 v[18:19], v[106:107], v[18:19]
	v_mov_b32_e32 v111, v113
	v_mov_b32_e32 v69, v61
	v_pk_add_f32 v[16:17], v[58:59], v[16:17]
	v_mov_b32_e32 v61, v71
	v_pk_add_f32 v[18:19], v[110:111], v[18:19]
	;; [unrolled: 2-line block ×3, first 2 shown]
	v_pk_add_f32 v[18:19], v[114:115], v[18:19]
	v_mov_b32_e32 v79, v81
	v_mov_b32_e32 v21, v41
	;; [unrolled: 1-line block ×3, first 2 shown]
	ds_write2_b64 v2, v[16:17], v[18:19] offset0:96 offset1:112
	v_mov_b32_e32 v85, v87
	v_pk_add_f32 v[16:17], v[0:1], v[78:79]
	v_pk_add_f32 v[18:19], v[0:1], v[20:21]
	v_mov_b32_e32 v27, v47
	v_pk_add_f32 v[0:1], v[0:1], v[12:13]
	v_mov_b32_e32 v9, v7
	;; [unrolled: 2-line block ×8, first 2 shown]
	v_mov_b32_e32 v68, v70
	v_pk_add_f32 v[16:17], v[92:93], v[16:17]
	v_mov_b32_e32 v97, v99
	v_pk_add_f32 v[18:19], v[52:53], v[18:19]
	;; [unrolled: 2-line block ×4, first 2 shown]
	v_pk_add_f32 v[16:17], v[96:97], v[16:17]
	v_pk_add_f32 v[18:19], v[66:67], v[18:19]
	;; [unrolled: 1-line block ×3, first 2 shown]
	ds_write2_b64 v2, v[100:101], v[22:23] offset0:64 offset1:80
	ds_write2_b64 v2, v[16:17], v[18:19] offset0:128 offset1:144
	ds_write_b64 v2, v[0:1] offset:1280
.LBB0_35:
	s_or_b64 exec, exec, s[2:3]
	s_mov_b32 s2, 0xba2f
	v_mul_u32_u24_sdwa v0, v33, s2 dst_sel:DWORD dst_unused:UNUSED_PAD src0_sel:WORD_0 src1_sel:DWORD
	v_lshrrev_b32_e32 v4, 23, v0
	v_mul_lo_u16_e32 v4, 0xb0, v4
	v_mov_b32_e32 v35, 0
	v_sub_u16_e32 v33, v33, v4
	v_lshl_add_u64 v[24:25], v[34:35], 3, s[8:9]
	v_lshlrev_b32_e32 v4, 4, v33
	s_waitcnt lgkmcnt(0)
	s_barrier
	global_load_dwordx4 v[0:3], v[24:25], off offset:1376
	v_add_u32_e32 v43, 0xa00, v42
	global_load_dwordx4 v[4:7], v4, s[8:9] offset:1376
	v_add_u32_e32 v54, 0x2000, v42
	v_add_u32_e32 v55, 0x1400, v42
	ds_read2_b64 v[8:11], v42 offset1:176
	ds_read_b64 v[26:27], v42 offset:11264
	ds_read2_b64 v[12:15], v43 offset0:32 offset1:208
	ds_read2_b64 v[16:19], v54 offset0:32 offset1:208
	;; [unrolled: 1-line block ×3, first 2 shown]
	s_mov_b32 s2, 0x3f5db3d7
	v_lshl_add_u32 v33, v33, 3, 0
	s_waitcnt lgkmcnt(0)
	s_barrier
	v_add_u32_e32 v37, 0x2000, v33
	v_mov_b32_e32 v39, v35
	v_lshl_add_u64 v[38:39], v[38:39], 3, s[8:9]
	s_waitcnt vmcnt(1)
	v_pk_mul_f32 v[40:41], v[0:1], v[14:15] op_sel:[0,1]
	v_pk_mul_f32 v[44:45], v[2:3], v[16:17] op_sel:[0,1]
	;; [unrolled: 1-line block ×4, first 2 shown]
	s_waitcnt vmcnt(0)
	v_pk_mul_f32 v[50:51], v[4:5], v[22:23] op_sel:[0,1]
	v_mov_b32_e32 v34, v7
	v_pk_fma_f32 v[52:53], v[0:1], v[14:15], v[40:41] op_sel:[0,0,1] op_sel_hi:[1,1,0]
	v_pk_fma_f32 v[14:15], v[0:1], v[14:15], v[40:41] op_sel:[0,0,1] op_sel_hi:[1,0,0] neg_lo:[1,0,0] neg_hi:[1,0,0]
	v_pk_fma_f32 v[40:41], v[2:3], v[16:17], v[44:45] op_sel:[0,0,1] op_sel_hi:[1,1,0]
	v_pk_fma_f32 v[16:17], v[2:3], v[16:17], v[44:45] op_sel:[0,0,1] op_sel_hi:[1,0,0] neg_lo:[1,0,0] neg_hi:[1,0,0]
	;; [unrolled: 2-line block ×5, first 2 shown]
	v_pk_mul_f32 v[22:23], v[26:27], v[34:35] op_sel_hi:[1,0]
	v_mov_b32_e32 v53, v15
	v_mov_b32_e32 v41, v17
	v_mov_b32_e32 v45, v1
	v_mov_b32_e32 v21, v3
	v_mov_b32_e32 v19, v5
	v_pk_fma_f32 v[0:1], v[26:27], v[6:7], v[22:23] op_sel:[0,0,1] op_sel_hi:[1,1,0]
	v_pk_fma_f32 v[2:3], v[26:27], v[6:7], v[22:23] op_sel:[0,0,1] op_sel_hi:[1,0,0] neg_lo:[0,0,1] neg_hi:[0,0,1]
	v_pk_add_f32 v[6:7], v[52:53], v[40:41]
	v_pk_add_f32 v[14:15], v[52:53], v[40:41] neg_lo:[0,1] neg_hi:[0,1]
	v_pk_add_f32 v[16:17], v[10:11], v[44:45]
	v_pk_add_f32 v[22:23], v[44:45], v[20:21]
	v_pk_add_f32 v[26:27], v[44:45], v[20:21] neg_lo:[0,1] neg_hi:[0,1]
	v_mov_b32_e32 v1, v3
	v_pk_add_f32 v[2:3], v[12:13], v[18:19]
	v_pk_add_f32 v[4:5], v[8:9], v[52:53]
	v_pk_fma_f32 v[6:7], v[6:7], 0.5, v[8:9] op_sel_hi:[1,0,1] neg_lo:[1,0,0] neg_hi:[1,0,0]
	v_pk_mul_f32 v[8:9], v[14:15], s[2:3] op_sel_hi:[1,0]
	v_pk_add_f32 v[14:15], v[16:17], v[20:21]
	v_pk_fma_f32 v[10:11], v[22:23], 0.5, v[10:11] op_sel_hi:[1,0,1] neg_lo:[1,0,0] neg_hi:[1,0,0]
	v_pk_mul_f32 v[16:17], v[26:27], s[2:3] op_sel_hi:[1,0]
	v_pk_add_f32 v[2:3], v[2:3], v[0:1]
	v_pk_add_f32 v[20:21], v[18:19], v[0:1]
	v_pk_add_f32 v[0:1], v[18:19], v[0:1] neg_lo:[0,1] neg_hi:[0,1]
	v_pk_add_f32 v[18:19], v[6:7], v[8:9] op_sel:[0,1] op_sel_hi:[1,0] neg_lo:[0,1] neg_hi:[0,1]
	v_pk_add_f32 v[6:7], v[6:7], v[8:9] op_sel:[0,1] op_sel_hi:[1,0]
	v_pk_add_f32 v[8:9], v[10:11], v[16:17] op_sel:[0,1] op_sel_hi:[1,0] neg_lo:[0,1] neg_hi:[0,1]
	v_pk_add_f32 v[10:11], v[10:11], v[16:17] op_sel:[0,1] op_sel_hi:[1,0]
	v_pk_fma_f32 v[12:13], v[20:21], 0.5, v[12:13] op_sel_hi:[1,0,1] neg_lo:[1,0,0] neg_hi:[1,0,0]
	v_pk_mul_f32 v[0:1], v[0:1], s[2:3] op_sel_hi:[1,0]
	v_pk_add_f32 v[4:5], v[4:5], v[40:41]
	v_mov_b32_e32 v16, v18
	v_mov_b32_e32 v17, v7
	;; [unrolled: 1-line block ×6, first 2 shown]
	v_pk_add_f32 v[8:9], v[12:13], v[0:1] op_sel:[0,1] op_sel_hi:[1,0] neg_lo:[0,1] neg_hi:[0,1]
	v_pk_add_f32 v[0:1], v[12:13], v[0:1] op_sel:[0,1] op_sel_hi:[1,0]
	ds_write2_b64 v42, v[4:5], v[16:17] offset1:176
	ds_write2_b64 v43, v[6:7], v[14:15] offset0:32 offset1:208
	ds_write2_b64 v55, v[18:19], v[10:11] offset0:64 offset1:240
	v_mov_b32_e32 v4, v8
	v_mov_b32_e32 v5, v1
	s_movk_i32 s3, 0x1000
	v_mov_b32_e32 v1, v9
	ds_write2_b64 v37, v[2:3], v[4:5] offset0:32 offset1:208
	ds_write_b64 v33, v[0:1] offset:11264
	v_add_co_u32_e32 v0, vcc, s3, v24
	v_mov_b32_e32 v37, v35
	s_nop 0
	v_addc_co_u32_e32 v1, vcc, 0, v25, vcc
	v_add_co_u32_e32 v4, vcc, s3, v38
	v_lshl_add_u64 v[8:9], v[36:37], 3, s[8:9]
	s_nop 0
	v_addc_co_u32_e32 v5, vcc, 0, v39, vcc
	v_add_co_u32_e32 v8, vcc, s3, v8
	s_waitcnt lgkmcnt(0)
	s_nop 0
	v_addc_co_u32_e32 v9, vcc, 0, v9, vcc
	s_barrier
	global_load_dwordx4 v[0:3], v[0:1], off offset:96
	s_nop 0
	global_load_dwordx4 v[4:7], v[4:5], off offset:96
	s_nop 0
	global_load_dwordx4 v[8:11], v[8:9], off offset:96
	ds_read2_b64 v[12:15], v43 offset0:32 offset1:208
	ds_read2_b64 v[16:19], v54 offset0:32 offset1:208
	;; [unrolled: 1-line block ×3, first 2 shown]
	ds_read2_b64 v[24:27], v42 offset1:176
	ds_read_b64 v[36:37], v42 offset:11264
	s_waitcnt lgkmcnt(0)
	s_barrier
	s_waitcnt vmcnt(2)
	v_pk_mul_f32 v[38:39], v[0:1], v[14:15] op_sel:[0,1]
	v_pk_mul_f32 v[40:41], v[2:3], v[16:17] op_sel:[0,1]
	s_waitcnt vmcnt(1)
	v_pk_mul_f32 v[44:45], v[4:5], v[20:21] op_sel:[0,1]
	v_pk_mul_f32 v[46:47], v[6:7], v[18:19] op_sel:[0,1]
	s_waitcnt vmcnt(0)
	v_pk_mul_f32 v[48:49], v[8:9], v[22:23] op_sel:[0,1]
	v_mov_b32_e32 v34, v11
	v_pk_fma_f32 v[50:51], v[0:1], v[14:15], v[38:39] op_sel:[0,0,1] op_sel_hi:[1,1,0]
	v_pk_fma_f32 v[0:1], v[0:1], v[14:15], v[38:39] op_sel:[0,0,1] op_sel_hi:[1,0,0] neg_lo:[1,0,0] neg_hi:[1,0,0]
	v_pk_fma_f32 v[14:15], v[2:3], v[16:17], v[40:41] op_sel:[0,0,1] op_sel_hi:[1,1,0]
	v_pk_fma_f32 v[2:3], v[2:3], v[16:17], v[40:41] op_sel:[0,0,1] op_sel_hi:[1,0,0] neg_lo:[1,0,0] neg_hi:[1,0,0]
	;; [unrolled: 2-line block ×5, first 2 shown]
	v_pk_mul_f32 v[22:23], v[36:37], v[34:35] op_sel_hi:[1,0]
	v_mov_b32_e32 v51, v1
	v_mov_b32_e32 v15, v3
	;; [unrolled: 1-line block ×5, first 2 shown]
	v_pk_fma_f32 v[0:1], v[36:37], v[10:11], v[22:23] op_sel:[0,0,1] op_sel_hi:[1,1,0]
	v_pk_fma_f32 v[2:3], v[36:37], v[10:11], v[22:23] op_sel:[0,0,1] op_sel_hi:[1,0,0] neg_lo:[0,0,1] neg_hi:[0,0,1]
	v_pk_add_f32 v[4:5], v[24:25], v[50:51]
	v_pk_add_f32 v[6:7], v[26:27], v[16:17]
	v_mov_b32_e32 v1, v3
	v_pk_add_f32 v[2:3], v[12:13], v[18:19]
	v_pk_add_f32 v[8:9], v[50:51], v[14:15]
	v_pk_add_f32 v[10:11], v[50:51], v[14:15] neg_lo:[0,1] neg_hi:[0,1]
	v_pk_add_f32 v[22:23], v[16:17], v[20:21]
	v_pk_add_f32 v[16:17], v[16:17], v[20:21] neg_lo:[0,1] neg_hi:[0,1]
	v_pk_add_f32 v[4:5], v[4:5], v[14:15]
	v_pk_add_f32 v[6:7], v[6:7], v[20:21]
	;; [unrolled: 1-line block ×3, first 2 shown]
	v_pk_fma_f32 v[8:9], v[8:9], 0.5, v[24:25] op_sel_hi:[1,0,1] neg_lo:[1,0,0] neg_hi:[1,0,0]
	v_pk_mul_f32 v[10:11], v[10:11], s[2:3] op_sel_hi:[1,0]
	v_pk_fma_f32 v[14:15], v[22:23], 0.5, v[26:27] op_sel_hi:[1,0,1] neg_lo:[1,0,0] neg_hi:[1,0,0]
	v_pk_mul_f32 v[16:17], v[16:17], s[2:3] op_sel_hi:[1,0]
	v_pk_add_f32 v[20:21], v[18:19], v[0:1]
	v_pk_add_f32 v[0:1], v[18:19], v[0:1] neg_lo:[0,1] neg_hi:[0,1]
	v_pk_add_f32 v[18:19], v[8:9], v[10:11] op_sel:[0,1] op_sel_hi:[1,0] neg_lo:[0,1] neg_hi:[0,1]
	v_pk_add_f32 v[8:9], v[8:9], v[10:11] op_sel:[0,1] op_sel_hi:[1,0]
	ds_write2_b64 v42, v[4:5], v[6:7] offset1:176
	v_pk_add_f32 v[4:5], v[14:15], v[16:17] op_sel:[0,1] op_sel_hi:[1,0] neg_lo:[0,1] neg_hi:[0,1]
	v_pk_add_f32 v[6:7], v[14:15], v[16:17] op_sel:[0,1] op_sel_hi:[1,0]
	v_pk_fma_f32 v[10:11], v[20:21], 0.5, v[12:13] op_sel_hi:[1,0,1] neg_lo:[1,0,0] neg_hi:[1,0,0]
	v_pk_mul_f32 v[0:1], v[0:1], s[2:3] op_sel_hi:[1,0]
	v_mov_b32_e32 v13, v9
	v_mov_b32_e32 v9, v19
	;; [unrolled: 1-line block ×5, first 2 shown]
	v_pk_add_f32 v[4:5], v[10:11], v[0:1] op_sel:[0,1] op_sel_hi:[1,0] neg_lo:[0,1] neg_hi:[0,1]
	v_pk_add_f32 v[0:1], v[10:11], v[0:1] op_sel:[0,1] op_sel_hi:[1,0]
	v_mov_b32_e32 v12, v18
	ds_write2_b64 v54, v[8:9], v[6:7] offset0:32 offset1:208
	ds_write2_b64 v43, v[2:3], v[12:13] offset0:32 offset1:208
	v_mov_b32_e32 v2, v4
	v_mov_b32_e32 v3, v1
	;; [unrolled: 1-line block ×3, first 2 shown]
	ds_write2_b64 v55, v[14:15], v[2:3] offset0:64 offset1:240
	ds_write_b64 v42, v[0:1] offset:11264
	s_waitcnt lgkmcnt(0)
	s_barrier
	s_and_saveexec_b64 s[2:3], s[0:1]
	s_cbranch_execz .LBB0_37
; %bb.36:
	v_mul_lo_u32 v0, s11, v30
	v_mul_lo_u32 v1, s10, v31
	v_mad_u64_u32 v[4:5], s[0:1], s10, v30, 0
	v_lshl_add_u32 v10, v32, 3, 0
	v_add3_u32 v5, v5, v1, v0
	ds_read2_b64 v[0:3], v10 offset1:176
	v_lshl_add_u64 v[4:5], v[4:5], 3, s[6:7]
	v_mov_b32_e32 v33, v35
	v_lshl_add_u64 v[8:9], v[28:29], 3, v[4:5]
	v_lshl_add_u64 v[4:5], v[32:33], 3, v[8:9]
	s_waitcnt lgkmcnt(0)
	global_store_dwordx2 v[4:5], v[0:1], off
	v_add_u32_e32 v0, 0xa00, v10
	ds_read2_b64 v[4:7], v0 offset0:32 offset1:208
	v_add_u32_e32 v34, 0xb0, v32
	v_lshl_add_u64 v[0:1], v[34:35], 3, v[8:9]
	v_add_u32_e32 v34, 0x160, v32
	global_store_dwordx2 v[0:1], v[2:3], off
	v_lshl_add_u64 v[0:1], v[34:35], 3, v[8:9]
	s_waitcnt lgkmcnt(0)
	global_store_dwordx2 v[0:1], v[4:5], off
	v_add_u32_e32 v0, 0x1400, v10
	ds_read2_b64 v[0:3], v0 offset0:64 offset1:240
	v_add_u32_e32 v34, 0x210, v32
	v_lshl_add_u64 v[4:5], v[34:35], 3, v[8:9]
	v_add_u32_e32 v34, 0x2c0, v32
	global_store_dwordx2 v[4:5], v[6:7], off
	;; [unrolled: 9-line block ×3, first 2 shown]
	v_lshl_add_u64 v[0:1], v[34:35], 3, v[8:9]
	s_waitcnt lgkmcnt(0)
	global_store_dwordx2 v[0:1], v[4:5], off
	ds_read_b64 v[0:1], v10 offset:11264
	v_add_u32_e32 v34, 0x4d0, v32
	v_lshl_add_u64 v[2:3], v[34:35], 3, v[8:9]
	v_add_u32_e32 v34, 0x580, v32
	global_store_dwordx2 v[2:3], v[6:7], off
	v_lshl_add_u64 v[2:3], v[34:35], 3, v[8:9]
	s_waitcnt lgkmcnt(0)
	global_store_dwordx2 v[2:3], v[0:1], off
.LBB0_37:
	s_endpgm
	.section	.rodata,"a",@progbits
	.p2align	6, 0x0
	.amdhsa_kernel fft_rtc_back_len1584_factors_4_2_2_11_3_3_wgs_176_tpt_176_halfLds_sp_op_CI_CI_unitstride_sbrr_C2R_dirReg
		.amdhsa_group_segment_fixed_size 0
		.amdhsa_private_segment_fixed_size 0
		.amdhsa_kernarg_size 104
		.amdhsa_user_sgpr_count 2
		.amdhsa_user_sgpr_dispatch_ptr 0
		.amdhsa_user_sgpr_queue_ptr 0
		.amdhsa_user_sgpr_kernarg_segment_ptr 1
		.amdhsa_user_sgpr_dispatch_id 0
		.amdhsa_user_sgpr_kernarg_preload_length 0
		.amdhsa_user_sgpr_kernarg_preload_offset 0
		.amdhsa_user_sgpr_private_segment_size 0
		.amdhsa_uses_dynamic_stack 0
		.amdhsa_enable_private_segment 0
		.amdhsa_system_sgpr_workgroup_id_x 1
		.amdhsa_system_sgpr_workgroup_id_y 0
		.amdhsa_system_sgpr_workgroup_id_z 0
		.amdhsa_system_sgpr_workgroup_info 0
		.amdhsa_system_vgpr_workitem_id 0
		.amdhsa_next_free_vgpr 122
		.amdhsa_next_free_sgpr 36
		.amdhsa_accum_offset 124
		.amdhsa_reserve_vcc 1
		.amdhsa_float_round_mode_32 0
		.amdhsa_float_round_mode_16_64 0
		.amdhsa_float_denorm_mode_32 3
		.amdhsa_float_denorm_mode_16_64 3
		.amdhsa_dx10_clamp 1
		.amdhsa_ieee_mode 1
		.amdhsa_fp16_overflow 0
		.amdhsa_tg_split 0
		.amdhsa_exception_fp_ieee_invalid_op 0
		.amdhsa_exception_fp_denorm_src 0
		.amdhsa_exception_fp_ieee_div_zero 0
		.amdhsa_exception_fp_ieee_overflow 0
		.amdhsa_exception_fp_ieee_underflow 0
		.amdhsa_exception_fp_ieee_inexact 0
		.amdhsa_exception_int_div_zero 0
	.end_amdhsa_kernel
	.text
.Lfunc_end0:
	.size	fft_rtc_back_len1584_factors_4_2_2_11_3_3_wgs_176_tpt_176_halfLds_sp_op_CI_CI_unitstride_sbrr_C2R_dirReg, .Lfunc_end0-fft_rtc_back_len1584_factors_4_2_2_11_3_3_wgs_176_tpt_176_halfLds_sp_op_CI_CI_unitstride_sbrr_C2R_dirReg
                                        ; -- End function
	.section	.AMDGPU.csdata,"",@progbits
; Kernel info:
; codeLenInByte = 7748
; NumSgprs: 42
; NumVgprs: 122
; NumAgprs: 0
; TotalNumVgprs: 122
; ScratchSize: 0
; MemoryBound: 0
; FloatMode: 240
; IeeeMode: 1
; LDSByteSize: 0 bytes/workgroup (compile time only)
; SGPRBlocks: 5
; VGPRBlocks: 15
; NumSGPRsForWavesPerEU: 42
; NumVGPRsForWavesPerEU: 122
; AccumOffset: 124
; Occupancy: 4
; WaveLimiterHint : 1
; COMPUTE_PGM_RSRC2:SCRATCH_EN: 0
; COMPUTE_PGM_RSRC2:USER_SGPR: 2
; COMPUTE_PGM_RSRC2:TRAP_HANDLER: 0
; COMPUTE_PGM_RSRC2:TGID_X_EN: 1
; COMPUTE_PGM_RSRC2:TGID_Y_EN: 0
; COMPUTE_PGM_RSRC2:TGID_Z_EN: 0
; COMPUTE_PGM_RSRC2:TIDIG_COMP_CNT: 0
; COMPUTE_PGM_RSRC3_GFX90A:ACCUM_OFFSET: 30
; COMPUTE_PGM_RSRC3_GFX90A:TG_SPLIT: 0
	.text
	.p2alignl 6, 3212836864
	.fill 256, 4, 3212836864
	.type	__hip_cuid_54f9e935b0e78277,@object ; @__hip_cuid_54f9e935b0e78277
	.section	.bss,"aw",@nobits
	.globl	__hip_cuid_54f9e935b0e78277
__hip_cuid_54f9e935b0e78277:
	.byte	0                               ; 0x0
	.size	__hip_cuid_54f9e935b0e78277, 1

	.ident	"AMD clang version 19.0.0git (https://github.com/RadeonOpenCompute/llvm-project roc-6.4.0 25133 c7fe45cf4b819c5991fe208aaa96edf142730f1d)"
	.section	".note.GNU-stack","",@progbits
	.addrsig
	.addrsig_sym __hip_cuid_54f9e935b0e78277
	.amdgpu_metadata
---
amdhsa.kernels:
  - .agpr_count:     0
    .args:
      - .actual_access:  read_only
        .address_space:  global
        .offset:         0
        .size:           8
        .value_kind:     global_buffer
      - .offset:         8
        .size:           8
        .value_kind:     by_value
      - .actual_access:  read_only
        .address_space:  global
        .offset:         16
        .size:           8
        .value_kind:     global_buffer
      - .actual_access:  read_only
        .address_space:  global
        .offset:         24
        .size:           8
        .value_kind:     global_buffer
      - .actual_access:  read_only
        .address_space:  global
        .offset:         32
        .size:           8
        .value_kind:     global_buffer
      - .offset:         40
        .size:           8
        .value_kind:     by_value
      - .actual_access:  read_only
        .address_space:  global
        .offset:         48
        .size:           8
        .value_kind:     global_buffer
      - .actual_access:  read_only
        .address_space:  global
        .offset:         56
        .size:           8
        .value_kind:     global_buffer
      - .offset:         64
        .size:           4
        .value_kind:     by_value
      - .actual_access:  read_only
        .address_space:  global
        .offset:         72
        .size:           8
        .value_kind:     global_buffer
      - .actual_access:  read_only
        .address_space:  global
        .offset:         80
        .size:           8
        .value_kind:     global_buffer
      - .actual_access:  read_only
        .address_space:  global
        .offset:         88
        .size:           8
        .value_kind:     global_buffer
      - .actual_access:  write_only
        .address_space:  global
        .offset:         96
        .size:           8
        .value_kind:     global_buffer
    .group_segment_fixed_size: 0
    .kernarg_segment_align: 8
    .kernarg_segment_size: 104
    .language:       OpenCL C
    .language_version:
      - 2
      - 0
    .max_flat_workgroup_size: 176
    .name:           fft_rtc_back_len1584_factors_4_2_2_11_3_3_wgs_176_tpt_176_halfLds_sp_op_CI_CI_unitstride_sbrr_C2R_dirReg
    .private_segment_fixed_size: 0
    .sgpr_count:     42
    .sgpr_spill_count: 0
    .symbol:         fft_rtc_back_len1584_factors_4_2_2_11_3_3_wgs_176_tpt_176_halfLds_sp_op_CI_CI_unitstride_sbrr_C2R_dirReg.kd
    .uniform_work_group_size: 1
    .uses_dynamic_stack: false
    .vgpr_count:     122
    .vgpr_spill_count: 0
    .wavefront_size: 64
amdhsa.target:   amdgcn-amd-amdhsa--gfx950
amdhsa.version:
  - 1
  - 2
...

	.end_amdgpu_metadata
